;; amdgpu-corpus repo=ROCm/rocFFT kind=compiled arch=gfx1201 opt=O3
	.text
	.amdgcn_target "amdgcn-amd-amdhsa--gfx1201"
	.amdhsa_code_object_version 6
	.protected	fft_rtc_back_len26_factors_13_2_wgs_64_tpt_2_halfLds_dp_op_CI_CI_unitstride_sbrr_R2C_dirReg ; -- Begin function fft_rtc_back_len26_factors_13_2_wgs_64_tpt_2_halfLds_dp_op_CI_CI_unitstride_sbrr_R2C_dirReg
	.globl	fft_rtc_back_len26_factors_13_2_wgs_64_tpt_2_halfLds_dp_op_CI_CI_unitstride_sbrr_R2C_dirReg
	.p2align	8
	.type	fft_rtc_back_len26_factors_13_2_wgs_64_tpt_2_halfLds_dp_op_CI_CI_unitstride_sbrr_R2C_dirReg,@function
fft_rtc_back_len26_factors_13_2_wgs_64_tpt_2_halfLds_dp_op_CI_CI_unitstride_sbrr_R2C_dirReg: ; @fft_rtc_back_len26_factors_13_2_wgs_64_tpt_2_halfLds_dp_op_CI_CI_unitstride_sbrr_R2C_dirReg
; %bb.0:
	s_clause 0x2
	s_load_b128 s[8:11], s[0:1], 0x0
	s_load_b128 s[4:7], s[0:1], 0x58
	;; [unrolled: 1-line block ×3, first 2 shown]
	v_lshrrev_b32_e32 v7, 1, v0
	v_mov_b32_e32 v3, 0
	v_mov_b32_e32 v1, 0
	;; [unrolled: 1-line block ×3, first 2 shown]
	s_delay_alu instid0(VALU_DEP_4) | instskip(NEXT) | instid1(VALU_DEP_4)
	v_lshl_or_b32 v5, ttmp9, 5, v7
	v_mov_b32_e32 v6, v3
	s_wait_kmcnt 0x0
	v_cmp_lt_u64_e64 s2, s[10:11], 2
	s_delay_alu instid0(VALU_DEP_1)
	s_and_b32 vcc_lo, exec_lo, s2
	s_cbranch_vccnz .LBB0_8
; %bb.1:
	s_load_b64 s[2:3], s[0:1], 0x10
	v_mov_b32_e32 v1, 0
	v_mov_b32_e32 v2, 0
	s_add_nc_u64 s[16:17], s[14:15], 8
	s_add_nc_u64 s[18:19], s[12:13], 8
	s_mov_b64 s[20:21], 1
	s_delay_alu instid0(VALU_DEP_1)
	v_dual_mov_b32 v57, v2 :: v_dual_mov_b32 v56, v1
	s_wait_kmcnt 0x0
	s_add_nc_u64 s[22:23], s[2:3], 8
	s_mov_b32 s3, 0
.LBB0_2:                                ; =>This Inner Loop Header: Depth=1
	s_load_b64 s[24:25], s[22:23], 0x0
                                        ; implicit-def: $vgpr60_vgpr61
	s_mov_b32 s2, exec_lo
	s_wait_kmcnt 0x0
	v_or_b32_e32 v4, s25, v6
	s_delay_alu instid0(VALU_DEP_1)
	v_cmpx_ne_u64_e32 0, v[3:4]
	s_wait_alu 0xfffe
	s_xor_b32 s26, exec_lo, s2
	s_cbranch_execz .LBB0_4
; %bb.3:                                ;   in Loop: Header=BB0_2 Depth=1
	s_cvt_f32_u32 s2, s24
	s_cvt_f32_u32 s27, s25
	s_sub_nc_u64 s[30:31], 0, s[24:25]
	s_wait_alu 0xfffe
	s_delay_alu instid0(SALU_CYCLE_1) | instskip(SKIP_1) | instid1(SALU_CYCLE_2)
	s_fmamk_f32 s2, s27, 0x4f800000, s2
	s_wait_alu 0xfffe
	v_s_rcp_f32 s2, s2
	s_delay_alu instid0(TRANS32_DEP_1) | instskip(SKIP_1) | instid1(SALU_CYCLE_2)
	s_mul_f32 s2, s2, 0x5f7ffffc
	s_wait_alu 0xfffe
	s_mul_f32 s27, s2, 0x2f800000
	s_wait_alu 0xfffe
	s_delay_alu instid0(SALU_CYCLE_2) | instskip(SKIP_1) | instid1(SALU_CYCLE_2)
	s_trunc_f32 s27, s27
	s_wait_alu 0xfffe
	s_fmamk_f32 s2, s27, 0xcf800000, s2
	s_cvt_u32_f32 s29, s27
	s_wait_alu 0xfffe
	s_delay_alu instid0(SALU_CYCLE_1) | instskip(SKIP_1) | instid1(SALU_CYCLE_2)
	s_cvt_u32_f32 s28, s2
	s_wait_alu 0xfffe
	s_mul_u64 s[34:35], s[30:31], s[28:29]
	s_wait_alu 0xfffe
	s_mul_hi_u32 s37, s28, s35
	s_mul_i32 s36, s28, s35
	s_mul_hi_u32 s2, s28, s34
	s_mul_i32 s33, s29, s34
	s_wait_alu 0xfffe
	s_add_nc_u64 s[36:37], s[2:3], s[36:37]
	s_mul_hi_u32 s27, s29, s34
	s_mul_hi_u32 s38, s29, s35
	s_add_co_u32 s2, s36, s33
	s_wait_alu 0xfffe
	s_add_co_ci_u32 s2, s37, s27
	s_mul_i32 s34, s29, s35
	s_add_co_ci_u32 s35, s38, 0
	s_wait_alu 0xfffe
	s_add_nc_u64 s[34:35], s[2:3], s[34:35]
	s_wait_alu 0xfffe
	v_add_co_u32 v4, s2, s28, s34
	s_delay_alu instid0(VALU_DEP_1) | instskip(SKIP_1) | instid1(VALU_DEP_1)
	s_cmp_lg_u32 s2, 0
	s_add_co_ci_u32 s29, s29, s35
	v_readfirstlane_b32 s28, v4
	s_wait_alu 0xfffe
	s_delay_alu instid0(VALU_DEP_1)
	s_mul_u64 s[30:31], s[30:31], s[28:29]
	s_wait_alu 0xfffe
	s_mul_hi_u32 s35, s28, s31
	s_mul_i32 s34, s28, s31
	s_mul_hi_u32 s2, s28, s30
	s_mul_i32 s33, s29, s30
	s_wait_alu 0xfffe
	s_add_nc_u64 s[34:35], s[2:3], s[34:35]
	s_mul_hi_u32 s27, s29, s30
	s_mul_hi_u32 s28, s29, s31
	s_wait_alu 0xfffe
	s_add_co_u32 s2, s34, s33
	s_add_co_ci_u32 s2, s35, s27
	s_mul_i32 s30, s29, s31
	s_add_co_ci_u32 s31, s28, 0
	s_wait_alu 0xfffe
	s_add_nc_u64 s[30:31], s[2:3], s[30:31]
	s_wait_alu 0xfffe
	v_add_co_u32 v4, s2, v4, s30
	s_delay_alu instid0(VALU_DEP_1) | instskip(SKIP_1) | instid1(VALU_DEP_1)
	s_cmp_lg_u32 s2, 0
	s_add_co_ci_u32 s2, s29, s31
	v_mul_hi_u32 v14, v5, v4
	s_wait_alu 0xfffe
	v_mad_co_u64_u32 v[8:9], null, v5, s2, 0
	v_mad_co_u64_u32 v[10:11], null, v6, v4, 0
	;; [unrolled: 1-line block ×3, first 2 shown]
	s_delay_alu instid0(VALU_DEP_3) | instskip(SKIP_1) | instid1(VALU_DEP_4)
	v_add_co_u32 v4, vcc_lo, v14, v8
	s_wait_alu 0xfffd
	v_add_co_ci_u32_e32 v8, vcc_lo, 0, v9, vcc_lo
	s_delay_alu instid0(VALU_DEP_2) | instskip(SKIP_1) | instid1(VALU_DEP_2)
	v_add_co_u32 v4, vcc_lo, v4, v10
	s_wait_alu 0xfffd
	v_add_co_ci_u32_e32 v4, vcc_lo, v8, v11, vcc_lo
	s_wait_alu 0xfffd
	v_add_co_ci_u32_e32 v8, vcc_lo, 0, v13, vcc_lo
	s_delay_alu instid0(VALU_DEP_2) | instskip(SKIP_1) | instid1(VALU_DEP_2)
	v_add_co_u32 v4, vcc_lo, v4, v12
	s_wait_alu 0xfffd
	v_add_co_ci_u32_e32 v10, vcc_lo, 0, v8, vcc_lo
	s_delay_alu instid0(VALU_DEP_2) | instskip(SKIP_1) | instid1(VALU_DEP_3)
	v_mul_lo_u32 v11, s25, v4
	v_mad_co_u64_u32 v[8:9], null, s24, v4, 0
	v_mul_lo_u32 v12, s24, v10
	s_delay_alu instid0(VALU_DEP_2) | instskip(NEXT) | instid1(VALU_DEP_2)
	v_sub_co_u32 v8, vcc_lo, v5, v8
	v_add3_u32 v9, v9, v12, v11
	s_delay_alu instid0(VALU_DEP_1) | instskip(SKIP_1) | instid1(VALU_DEP_1)
	v_sub_nc_u32_e32 v11, v6, v9
	s_wait_alu 0xfffd
	v_subrev_co_ci_u32_e64 v11, s2, s25, v11, vcc_lo
	v_add_co_u32 v12, s2, v4, 2
	s_wait_alu 0xf1ff
	v_add_co_ci_u32_e64 v13, s2, 0, v10, s2
	v_sub_co_u32 v14, s2, v8, s24
	v_sub_co_ci_u32_e32 v9, vcc_lo, v6, v9, vcc_lo
	s_wait_alu 0xf1ff
	v_subrev_co_ci_u32_e64 v11, s2, 0, v11, s2
	s_delay_alu instid0(VALU_DEP_3) | instskip(NEXT) | instid1(VALU_DEP_3)
	v_cmp_le_u32_e32 vcc_lo, s24, v14
	v_cmp_eq_u32_e64 s2, s25, v9
	s_wait_alu 0xfffd
	v_cndmask_b32_e64 v14, 0, -1, vcc_lo
	v_cmp_le_u32_e32 vcc_lo, s25, v11
	s_wait_alu 0xfffd
	v_cndmask_b32_e64 v15, 0, -1, vcc_lo
	v_cmp_le_u32_e32 vcc_lo, s24, v8
	;; [unrolled: 3-line block ×3, first 2 shown]
	s_wait_alu 0xfffd
	v_cndmask_b32_e64 v16, 0, -1, vcc_lo
	v_cmp_eq_u32_e32 vcc_lo, s25, v11
	s_wait_alu 0xf1ff
	s_delay_alu instid0(VALU_DEP_2)
	v_cndmask_b32_e64 v8, v16, v8, s2
	s_wait_alu 0xfffd
	v_cndmask_b32_e32 v11, v15, v14, vcc_lo
	v_add_co_u32 v14, vcc_lo, v4, 1
	s_wait_alu 0xfffd
	v_add_co_ci_u32_e32 v15, vcc_lo, 0, v10, vcc_lo
	s_delay_alu instid0(VALU_DEP_3) | instskip(SKIP_2) | instid1(VALU_DEP_3)
	v_cmp_ne_u32_e32 vcc_lo, 0, v11
	s_wait_alu 0xfffd
	v_cndmask_b32_e32 v11, v14, v12, vcc_lo
	v_cndmask_b32_e32 v9, v15, v13, vcc_lo
	v_cmp_ne_u32_e32 vcc_lo, 0, v8
	s_wait_alu 0xfffd
	s_delay_alu instid0(VALU_DEP_2)
	v_dual_cndmask_b32 v60, v4, v11 :: v_dual_cndmask_b32 v61, v10, v9
.LBB0_4:                                ;   in Loop: Header=BB0_2 Depth=1
	s_wait_alu 0xfffe
	s_and_not1_saveexec_b32 s2, s26
	s_cbranch_execz .LBB0_6
; %bb.5:                                ;   in Loop: Header=BB0_2 Depth=1
	v_cvt_f32_u32_e32 v4, s24
	s_sub_co_i32 s26, 0, s24
	v_mov_b32_e32 v61, v3
	s_delay_alu instid0(VALU_DEP_2) | instskip(NEXT) | instid1(TRANS32_DEP_1)
	v_rcp_iflag_f32_e32 v4, v4
	v_mul_f32_e32 v4, 0x4f7ffffe, v4
	s_delay_alu instid0(VALU_DEP_1) | instskip(SKIP_1) | instid1(VALU_DEP_1)
	v_cvt_u32_f32_e32 v4, v4
	s_wait_alu 0xfffe
	v_mul_lo_u32 v8, s26, v4
	s_delay_alu instid0(VALU_DEP_1) | instskip(NEXT) | instid1(VALU_DEP_1)
	v_mul_hi_u32 v8, v4, v8
	v_add_nc_u32_e32 v4, v4, v8
	s_delay_alu instid0(VALU_DEP_1) | instskip(NEXT) | instid1(VALU_DEP_1)
	v_mul_hi_u32 v4, v5, v4
	v_mul_lo_u32 v8, v4, s24
	s_delay_alu instid0(VALU_DEP_1) | instskip(NEXT) | instid1(VALU_DEP_1)
	v_sub_nc_u32_e32 v8, v5, v8
	v_subrev_nc_u32_e32 v10, s24, v8
	v_cmp_le_u32_e32 vcc_lo, s24, v8
	s_wait_alu 0xfffd
	s_delay_alu instid0(VALU_DEP_2) | instskip(NEXT) | instid1(VALU_DEP_1)
	v_dual_cndmask_b32 v8, v8, v10 :: v_dual_add_nc_u32 v9, 1, v4
	v_cndmask_b32_e32 v4, v4, v9, vcc_lo
	s_delay_alu instid0(VALU_DEP_2) | instskip(NEXT) | instid1(VALU_DEP_2)
	v_cmp_le_u32_e32 vcc_lo, s24, v8
	v_add_nc_u32_e32 v9, 1, v4
	s_wait_alu 0xfffd
	s_delay_alu instid0(VALU_DEP_1)
	v_cndmask_b32_e32 v60, v4, v9, vcc_lo
.LBB0_6:                                ;   in Loop: Header=BB0_2 Depth=1
	s_wait_alu 0xfffe
	s_or_b32 exec_lo, exec_lo, s2
	v_mul_lo_u32 v4, v61, s24
	s_delay_alu instid0(VALU_DEP_2)
	v_mul_lo_u32 v10, v60, s25
	s_load_b64 s[26:27], s[18:19], 0x0
	v_mad_co_u64_u32 v[8:9], null, v60, s24, 0
	s_load_b64 s[24:25], s[16:17], 0x0
	s_add_nc_u64 s[20:21], s[20:21], 1
	s_add_nc_u64 s[16:17], s[16:17], 8
	s_wait_alu 0xfffe
	v_cmp_ge_u64_e64 s2, s[20:21], s[10:11]
	s_add_nc_u64 s[18:19], s[18:19], 8
	s_add_nc_u64 s[22:23], s[22:23], 8
	v_add3_u32 v4, v9, v10, v4
	v_sub_co_u32 v5, vcc_lo, v5, v8
	s_wait_alu 0xfffd
	s_delay_alu instid0(VALU_DEP_2) | instskip(SKIP_2) | instid1(VALU_DEP_1)
	v_sub_co_ci_u32_e32 v4, vcc_lo, v6, v4, vcc_lo
	s_and_b32 vcc_lo, exec_lo, s2
	s_wait_kmcnt 0x0
	v_mul_lo_u32 v6, s26, v4
	v_mul_lo_u32 v8, s27, v5
	v_mad_co_u64_u32 v[1:2], null, s26, v5, v[1:2]
	v_mul_lo_u32 v4, s24, v4
	v_mul_lo_u32 v9, s25, v5
	v_mad_co_u64_u32 v[56:57], null, s24, v5, v[56:57]
	s_delay_alu instid0(VALU_DEP_4) | instskip(NEXT) | instid1(VALU_DEP_2)
	v_add3_u32 v2, v8, v2, v6
	v_add3_u32 v57, v9, v57, v4
	s_wait_alu 0xfffe
	s_cbranch_vccnz .LBB0_9
; %bb.7:                                ;   in Loop: Header=BB0_2 Depth=1
	v_dual_mov_b32 v5, v60 :: v_dual_mov_b32 v6, v61
	s_branch .LBB0_2
.LBB0_8:
	v_dual_mov_b32 v57, v2 :: v_dual_mov_b32 v56, v1
	v_dual_mov_b32 v61, v6 :: v_dual_mov_b32 v60, v5
.LBB0_9:
	s_load_b64 s[0:1], s[0:1], 0x28
	v_and_b32_e32 v58, 1, v0
	s_lshl_b64 s[10:11], s[10:11], 3
                                        ; implicit-def: $vgpr67
                                        ; implicit-def: $vgpr69
                                        ; implicit-def: $vgpr65
                                        ; implicit-def: $vgpr63
                                        ; implicit-def: $vgpr62
	s_wait_kmcnt 0x0
	v_cmp_gt_u64_e32 vcc_lo, s[0:1], v[60:61]
	v_cmp_le_u64_e64 s0, s[0:1], v[60:61]
	s_delay_alu instid0(VALU_DEP_1)
	s_and_saveexec_b32 s1, s0
	s_wait_alu 0xfffe
	s_xor_b32 s0, exec_lo, s1
; %bb.10:
	v_and_b32_e32 v58, 1, v0
                                        ; implicit-def: $vgpr1_vgpr2
	s_delay_alu instid0(VALU_DEP_1)
	v_or_b32_e32 v67, 2, v58
	v_or_b32_e32 v69, 4, v58
	v_or_b32_e32 v65, 6, v58
	v_or_b32_e32 v63, 8, v58
	v_or_b32_e32 v62, 10, v58
; %bb.11:
	s_wait_alu 0xfffe
	s_or_saveexec_b32 s1, s0
	v_mul_u32_u24_e32 v0, 27, v7
	s_add_nc_u64 s[2:3], s[14:15], s[10:11]
	s_delay_alu instid0(VALU_DEP_1)
	v_lshlrev_b32_e32 v0, 4, v0
	s_wait_alu 0xfffe
	s_xor_b32 exec_lo, exec_lo, s1
	s_cbranch_execz .LBB0_13
; %bb.12:
	s_add_nc_u64 s[10:11], s[12:13], s[10:11]
	v_lshlrev_b64_e32 v[1:2], 4, v[1:2]
	s_load_b64 s[10:11], s[10:11], 0x0
	v_lshlrev_b32_e32 v53, 4, v58
	v_or_b32_e32 v67, 2, v58
	v_or_b32_e32 v69, 4, v58
	;; [unrolled: 1-line block ×5, first 2 shown]
	s_wait_kmcnt 0x0
	v_mul_lo_u32 v5, s11, v60
	v_mul_lo_u32 v6, s10, v61
	v_mad_co_u64_u32 v[3:4], null, s10, v60, 0
	s_delay_alu instid0(VALU_DEP_1) | instskip(NEXT) | instid1(VALU_DEP_1)
	v_add3_u32 v4, v4, v6, v5
	v_lshlrev_b64_e32 v[3:4], 4, v[3:4]
	s_delay_alu instid0(VALU_DEP_1) | instskip(SKIP_1) | instid1(VALU_DEP_2)
	v_add_co_u32 v3, s0, s4, v3
	s_wait_alu 0xf1ff
	v_add_co_ci_u32_e64 v4, s0, s5, v4, s0
	s_delay_alu instid0(VALU_DEP_2) | instskip(SKIP_1) | instid1(VALU_DEP_2)
	v_add_co_u32 v1, s0, v3, v1
	s_wait_alu 0xf1ff
	v_add_co_ci_u32_e64 v2, s0, v4, v2, s0
	s_delay_alu instid0(VALU_DEP_2) | instskip(SKIP_1) | instid1(VALU_DEP_2)
	v_add_co_u32 v49, s0, v1, v53
	s_wait_alu 0xf1ff
	v_add_co_ci_u32_e64 v50, s0, 0, v2, s0
	v_add3_u32 v53, 0, v0, v53
	s_clause 0xc
	global_load_b128 v[1:4], v[49:50], off
	global_load_b128 v[5:8], v[49:50], off offset:32
	global_load_b128 v[9:12], v[49:50], off offset:64
	;; [unrolled: 1-line block ×12, first 2 shown]
	s_wait_loadcnt 0xc
	ds_store_b128 v53, v[1:4]
	s_wait_loadcnt 0xb
	ds_store_b128 v53, v[5:8] offset:32
	s_wait_loadcnt 0xa
	ds_store_b128 v53, v[9:12] offset:64
	;; [unrolled: 2-line block ×12, first 2 shown]
.LBB0_13:
	s_or_b32 exec_lo, exec_lo, s1
	v_add_nc_u32_e32 v75, 0, v0
	v_lshlrev_b32_e32 v77, 4, v58
	s_load_b64 s[4:5], s[2:3], 0x0
	global_wb scope:SCOPE_SE
	s_wait_dscnt 0x0
	s_wait_kmcnt 0x0
	s_barrier_signal -1
	s_barrier_wait -1
	v_add_nc_u32_e32 v76, v75, v77
	v_add3_u32 v78, 0, v77, v0
	global_inv scope:SCOPE_SE
	s_mov_b32 s14, 0x42a4c3d2
	ds_load_b128 v[4:7], v76
	ds_load_b128 v[20:23], v78 offset:32
	ds_load_b128 v[30:33], v78 offset:64
	;; [unrolled: 1-line block ×3, first 2 shown]
	s_mov_b32 s2, 0x1ea71119
	s_mov_b32 s15, 0xbfea55e2
	;; [unrolled: 1-line block ×17, first 2 shown]
	s_wait_dscnt 0x2
	v_add_f64_e32 v[0:1], v[4:5], v[20:21]
	v_add_f64_e32 v[2:3], v[6:7], v[22:23]
	s_mov_b32 s27, 0xbfe7f3cc
	s_mov_b32 s28, 0x93053d00
	s_mov_b32 s17, 0xbfddbe06
	s_mov_b32 s1, 0x3fec55a7
	s_mov_b32 s25, 0xbfcea1e5
	s_mov_b32 s29, 0xbfef11f4
	s_mov_b32 s37, 0x3fea55e2
	s_mov_b32 s36, s14
	s_mov_b32 s39, 0x3fefc445
	s_mov_b32 s38, s18
	s_mov_b32 s43, 0x3fedeba7
	s_mov_b32 s41, 0x3fe5384d
	s_mov_b32 s42, s12
	s_mov_b32 s40, s22
	s_mov_b32 s31, 0x3fddbe06
	s_mov_b32 s35, 0x3fcea1e5
	s_mov_b32 s30, s16
	s_wait_alu 0xfffe
	s_mov_b32 s34, s24
	s_wait_dscnt 0x1
	s_delay_alu instid0(VALU_DEP_2) | instskip(NEXT) | instid1(VALU_DEP_2)
	v_add_f64_e32 v[24:25], v[0:1], v[30:31]
	v_add_f64_e32 v[26:27], v[2:3], v[32:33]
	ds_load_b128 v[0:3], v78 offset:384
	ds_load_b128 v[12:15], v78 offset:320
	;; [unrolled: 1-line block ×6, first 2 shown]
	s_wait_dscnt 0x4
	v_add_f64_e64 v[99:100], v[40:41], -v[14:15]
	v_add_f64_e64 v[87:88], v[22:23], -v[2:3]
	v_add_f64_e32 v[89:90], v[22:23], v[2:3]
	s_wait_dscnt 0x1
	v_add_f64_e32 v[50:51], v[79:80], v[16:17]
	v_add_f64_e32 v[107:108], v[81:82], v[18:19]
	v_add_f64_e64 v[48:49], v[79:80], -v[16:17]
	v_add_f64_e64 v[109:110], v[81:82], -v[18:19]
	;; [unrolled: 1-line block ×3, first 2 shown]
	v_add_f64_e32 v[97:98], v[32:33], v[10:11]
	v_add_f64_e32 v[101:102], v[20:21], v[0:1]
	v_add_f64_e64 v[103:104], v[20:21], -v[0:1]
	v_add_f64_e32 v[72:73], v[30:31], v[8:9]
	v_add_f64_e64 v[70:71], v[30:31], -v[8:9]
	v_add_f64_e32 v[105:106], v[40:41], v[14:15]
	v_add_f64_e32 v[54:55], v[38:39], v[12:13]
	v_add_f64_e64 v[52:53], v[38:39], -v[12:13]
	v_add_f64_e32 v[91:92], v[24:25], v[38:39]
	v_add_f64_e32 v[93:94], v[26:27], v[40:41]
	ds_load_b128 v[22:25], v78 offset:256
	ds_load_b128 v[34:37], v78 offset:192
	;; [unrolled: 1-line block ×3, first 2 shown]
	global_wb scope:SCOPE_SE
	s_wait_dscnt 0x0
	s_barrier_signal -1
	s_barrier_wait -1
	global_inv scope:SCOPE_SE
	v_mul_f64_e32 v[131:132], s[24:25], v[99:100]
	v_mul_f64_e32 v[115:116], s[14:15], v[87:88]
	v_mul_f64_e32 v[117:118], s[2:3], v[89:90]
	v_mul_f64_e32 v[119:120], s[18:19], v[87:88]
	v_mul_f64_e32 v[121:122], s[10:11], v[89:90]
	v_mul_f64_e32 v[123:124], s[12:13], v[87:88]
	v_mul_f64_e32 v[125:126], s[20:21], v[89:90]
	v_mul_f64_e32 v[111:112], s[16:17], v[87:88]
	v_mul_f64_e32 v[113:114], s[0:1], v[89:90]
	v_mul_f64_e32 v[127:128], s[12:13], v[95:96]
	v_mul_f64_e32 v[129:130], s[20:21], v[97:98]
	v_add_f64_e32 v[30:31], v[34:35], v[26:27]
	v_add_f64_e32 v[40:41], v[36:37], v[28:29]
	v_add_f64_e64 v[20:21], v[34:35], -v[26:27]
	v_add_f64_e64 v[42:43], v[36:37], -v[28:29]
	v_mul_f64_e32 v[133:134], s[24:25], v[95:96]
	v_add_f64_e32 v[79:80], v[91:92], v[79:80]
	v_add_f64_e32 v[81:82], v[93:94], v[81:82]
	v_mul_f64_e32 v[91:92], s[22:23], v[87:88]
	v_mul_f64_e32 v[93:94], s[26:27], v[89:90]
	;; [unrolled: 1-line block ×14, first 2 shown]
	v_add_f64_e32 v[38:39], v[83:84], v[22:23]
	v_add_f64_e32 v[44:45], v[85:86], v[24:25]
	v_add_f64_e64 v[32:33], v[83:84], -v[22:23]
	v_add_f64_e64 v[46:47], v[85:86], -v[24:25]
	v_mul_f64_e32 v[137:138], s[42:43], v[99:100]
	v_mul_f64_e32 v[143:144], s[30:31], v[99:100]
	;; [unrolled: 1-line block ×3, first 2 shown]
	v_fma_f64 v[187:188], v[101:102], s[2:3], v[115:116]
	v_fma_f64 v[189:190], v[103:104], s[36:37], v[117:118]
	;; [unrolled: 1-line block ×8, first 2 shown]
	v_fma_f64 v[111:112], v[101:102], s[0:1], -v[111:112]
	v_fma_f64 v[113:114], v[103:104], s[16:17], v[113:114]
	v_fma_f64 v[115:116], v[101:102], s[2:3], -v[115:116]
	v_fma_f64 v[117:118], v[103:104], s[14:15], v[117:118]
	;; [unrolled: 2-line block ×3, first 2 shown]
	v_fma_f64 v[123:124], v[101:102], s[20:21], -v[123:124]
	v_add_f64_e32 v[79:80], v[79:80], v[83:84]
	v_add_f64_e32 v[81:82], v[81:82], v[85:86]
	v_fma_f64 v[199:200], v[101:102], s[26:27], v[91:92]
	v_fma_f64 v[201:202], v[103:104], s[40:41], v[93:94]
	;; [unrolled: 1-line block ×3, first 2 shown]
	s_wait_alu 0xfffe
	v_fma_f64 v[205:206], v[103:104], s[34:35], v[89:90]
	v_fma_f64 v[125:126], v[103:104], s[12:13], v[125:126]
	v_fma_f64 v[91:92], v[101:102], s[26:27], -v[91:92]
	v_fma_f64 v[93:94], v[103:104], s[22:23], v[93:94]
	v_fma_f64 v[87:88], v[101:102], s[28:29], -v[87:88]
	v_fma_f64 v[89:90], v[103:104], s[24:25], v[89:90]
	v_fma_f64 v[101:102], v[72:73], s[20:21], v[127:128]
	;; [unrolled: 1-line block ×3, first 2 shown]
	v_mul_f64_e32 v[155:156], s[22:23], v[99:100]
	v_mul_f64_e32 v[99:100], s[18:19], v[99:100]
	;; [unrolled: 1-line block ×10, first 2 shown]
	v_add_f64_e32 v[187:188], v[4:5], v[187:188]
	v_add_f64_e32 v[189:190], v[6:7], v[189:190]
	v_mul_f64_e32 v[173:174], s[30:31], v[109:110]
	v_mul_f64_e32 v[175:176], s[18:19], v[109:110]
	;; [unrolled: 1-line block ×9, first 2 shown]
	v_fma_f64 v[209:210], v[72:73], s[28:29], v[133:134]
	v_fma_f64 v[211:212], v[70:71], s[34:35], v[135:136]
	v_add_f64_e32 v[191:192], v[4:5], v[191:192]
	v_add_f64_e32 v[193:194], v[6:7], v[193:194]
	;; [unrolled: 1-line block ×4, first 2 shown]
	v_fma_f64 v[215:216], v[72:73], s[26:27], v[139:140]
	v_fma_f64 v[217:218], v[70:71], s[22:23], v[141:142]
	v_add_f64_e32 v[195:196], v[4:5], v[195:196]
	v_add_f64_e32 v[197:198], v[6:7], v[197:198]
	v_fma_f64 v[81:82], v[72:73], s[10:11], v[145:146]
	v_fma_f64 v[219:220], v[70:71], s[18:19], v[147:148]
	v_add_f64_e32 v[199:200], v[4:5], v[199:200]
	v_add_f64_e32 v[201:202], v[6:7], v[201:202]
	;; [unrolled: 4-line block ×3, first 2 shown]
	v_fma_f64 v[151:152], v[72:73], s[0:1], -v[151:152]
	v_fma_f64 v[153:154], v[70:71], s[30:31], v[153:154]
	v_add_f64_e32 v[183:184], v[4:5], v[183:184]
	v_add_f64_e32 v[185:186], v[6:7], v[185:186]
	;; [unrolled: 1-line block ×14, first 2 shown]
	v_fma_f64 v[227:228], v[72:73], s[2:3], v[95:96]
	v_fma_f64 v[95:96], v[72:73], s[2:3], -v[95:96]
	v_fma_f64 v[127:128], v[72:73], s[20:21], -v[127:128]
	;; [unrolled: 1-line block ×5, first 2 shown]
	v_fma_f64 v[145:146], v[70:71], s[36:37], v[97:98]
	v_fma_f64 v[97:98], v[70:71], s[14:15], v[97:98]
	v_add_f64_e32 v[26:27], v[34:35], v[26:27]
	v_add_f64_e32 v[28:29], v[36:37], v[28:29]
	v_fma_f64 v[129:130], v[70:71], s[12:13], v[129:130]
	v_fma_f64 v[135:136], v[70:71], s[24:25], v[135:136]
	;; [unrolled: 1-line block ×6, first 2 shown]
	v_add_f64_e32 v[101:102], v[101:102], v[187:188]
	v_add_f64_e32 v[103:104], v[103:104], v[189:190]
	v_fma_f64 v[213:214], v[54:55], s[20:21], v[137:138]
	v_fma_f64 v[79:80], v[54:55], s[0:1], v[143:144]
	v_fma_f64 v[225:226], v[54:55], s[26:27], v[155:156]
	v_fma_f64 v[155:156], v[54:55], s[26:27], -v[155:156]
	v_fma_f64 v[147:148], v[54:55], s[10:11], v[99:100]
	v_fma_f64 v[99:100], v[54:55], s[10:11], -v[99:100]
	v_fma_f64 v[131:132], v[54:55], s[28:29], -v[131:132]
	;; [unrolled: 1-line block ×4, first 2 shown]
	v_fma_f64 v[229:230], v[54:55], s[2:3], v[149:150]
	v_fma_f64 v[54:55], v[54:55], s[2:3], -v[149:150]
	v_fma_f64 v[149:150], v[52:53], s[40:41], v[157:158]
	v_fma_f64 v[157:158], v[52:53], s[22:23], v[157:158]
	;; [unrolled: 1-line block ×12, first 2 shown]
	v_fma_f64 v[167:168], v[50:51], s[2:3], -v[167:168]
	v_fma_f64 v[237:238], v[50:51], s[20:21], v[169:170]
	v_fma_f64 v[169:170], v[50:51], s[20:21], -v[169:170]
	v_fma_f64 v[87:88], v[50:51], s[26:27], v[171:172]
	;; [unrolled: 2-line block ×3, first 2 shown]
	v_fma_f64 v[173:174], v[50:51], s[0:1], -v[173:174]
	v_add_f64_e32 v[22:23], v[26:27], v[22:23]
	v_add_f64_e32 v[24:25], v[28:29], v[24:25]
	v_fma_f64 v[26:27], v[50:51], s[10:11], v[175:176]
	v_fma_f64 v[28:29], v[50:51], s[10:11], -v[175:176]
	v_fma_f64 v[175:176], v[50:51], s[28:29], v[109:110]
	v_fma_f64 v[50:51], v[50:51], s[28:29], -v[109:110]
	v_fma_f64 v[109:110], v[48:49], s[14:15], v[177:178]
	v_fma_f64 v[177:178], v[48:49], s[36:37], v[177:178]
	;; [unrolled: 1-line block ×12, first 2 shown]
	v_add_f64_e32 v[107:108], v[209:210], v[191:192]
	v_add_f64_e32 v[187:188], v[211:212], v[193:194]
	;; [unrolled: 1-line block ×22, first 2 shown]
	v_mul_f64_e32 v[191:192], s[12:13], v[46:47]
	v_mul_f64_e32 v[195:196], s[22:23], v[46:47]
	;; [unrolled: 1-line block ×7, first 2 shown]
	v_add_f64_e32 v[101:102], v[207:208], v[101:102]
	v_add_f64_e32 v[103:104], v[233:234], v[103:104]
	v_mul_f64_e32 v[153:154], s[2:3], v[44:45]
	v_mul_f64_e32 v[215:216], s[28:29], v[44:45]
	;; [unrolled: 1-line block ×5, first 2 shown]
	v_add_f64_e32 v[16:17], v[22:23], v[16:17]
	v_add_f64_e32 v[18:19], v[24:25], v[18:19]
	;; [unrolled: 1-line block ×24, first 2 shown]
	v_mul_f64_e32 v[151:152], s[30:31], v[42:43]
	v_mul_f64_e32 v[113:114], s[0:1], v[40:41]
	v_fma_f64 v[207:208], v[38:39], s[20:21], v[191:192]
	v_fma_f64 v[191:192], v[38:39], s[20:21], -v[191:192]
	v_fma_f64 v[217:218], v[38:39], s[26:27], v[195:196]
	v_fma_f64 v[195:196], v[38:39], s[26:27], -v[195:196]
	;; [unrolled: 2-line block ×6, first 2 shown]
	v_fma_f64 v[46:47], v[32:33], s[18:19], v[211:212]
	v_add_f64_e32 v[87:88], v[87:88], v[101:102]
	v_add_f64_e32 v[101:102], v[241:242], v[103:104]
	v_mul_f64_e32 v[127:128], s[22:23], v[42:43]
	v_mul_f64_e32 v[129:130], s[26:27], v[40:41]
	v_fma_f64 v[157:158], v[32:33], s[36:37], v[153:154]
	v_add_f64_e32 v[24:25], v[171:172], v[107:108]
	v_add_f64_e32 v[103:104], v[243:244], v[187:188]
	v_mul_f64_e32 v[133:134], s[36:37], v[42:43]
	v_mul_f64_e32 v[135:136], s[2:3], v[40:41]
	;; [unrolled: 5-line block ×4, first 2 shown]
	v_fma_f64 v[205:206], v[32:33], s[42:43], v[111:112]
	v_add_f64_e32 v[105:106], v[105:106], v[193:194]
	v_add_f64_e32 v[107:108], v[109:110], v[149:150]
	v_fma_f64 v[72:73], v[32:33], s[12:13], v[111:112]
	v_add_f64_e32 v[4:5], v[167:168], v[4:5]
	v_add_f64_e32 v[6:7], v[177:178], v[6:7]
	v_fma_f64 v[145:146], v[32:33], s[14:15], v[153:154]
	v_fma_f64 v[153:154], v[32:33], s[30:31], v[185:186]
	v_add_f64_e32 v[50:51], v[50:51], v[54:55]
	v_add_f64_e32 v[48:49], v[48:49], v[52:53]
	v_mul_f64_e32 v[42:43], s[24:25], v[42:43]
	v_fma_f64 v[131:132], v[32:33], s[22:23], v[44:45]
	v_fma_f64 v[149:150], v[32:33], s[34:35], v[215:216]
	v_add_f64_e32 v[95:96], v[169:170], v[95:96]
	v_add_f64_e32 v[97:98], v[179:180], v[97:98]
	;; [unrolled: 1-line block ×7, first 2 shown]
	v_fma_f64 v[143:144], v[32:33], s[38:39], v[211:212]
	v_add_f64_e32 v[83:84], v[83:84], v[115:116]
	v_mul_f64_e32 v[40:41], s[28:29], v[40:41]
	v_add_f64_e32 v[147:148], v[237:238], v[147:148]
	v_fma_f64 v[32:33], v[32:33], s[40:41], v[44:45]
	v_add_f64_e32 v[44:45], v[239:240], v[125:126]
	v_add_f64_e32 v[12:13], v[16:17], v[12:13]
	;; [unrolled: 1-line block ×3, first 2 shown]
	v_fma_f64 v[155:156], v[30:31], s[0:1], v[151:152]
	v_fma_f64 v[70:71], v[20:21], s[16:17], v[113:114]
	v_add_f64_e32 v[87:88], v[213:214], v[87:88]
	v_add_f64_e32 v[46:47], v[46:47], v[101:102]
	v_fma_f64 v[111:112], v[30:31], s[26:27], v[127:128]
	v_fma_f64 v[123:124], v[20:21], s[40:41], v[129:130]
	v_add_f64_e32 v[18:19], v[219:220], v[24:25]
	v_add_f64_e32 v[24:25], v[157:158], v[103:104]
	;; [unrolled: 4-line block ×5, first 2 shown]
	v_add_f64_e32 v[4:5], v[191:192], v[4:5]
	v_add_f64_e32 v[6:7], v[72:73], v[6:7]
	v_fma_f64 v[72:73], v[30:31], s[10:11], -v[91:92]
	v_fma_f64 v[91:92], v[20:21], s[38:39], v[93:94]
	v_fma_f64 v[119:120], v[30:31], s[20:21], -v[139:140]
	v_add_f64_e32 v[38:39], v[38:39], v[50:51]
	v_add_f64_e32 v[48:49], v[153:154], v[48:49]
	v_fma_f64 v[50:51], v[20:21], s[12:13], v[141:142]
	v_fma_f64 v[93:94], v[30:31], s[28:29], v[42:43]
	v_fma_f64 v[42:43], v[30:31], s[28:29], -v[42:43]
	v_fma_f64 v[107:108], v[30:31], s[26:27], -v[127:128]
	;; [unrolled: 1-line block ×3, first 2 shown]
	v_add_f64_e32 v[95:96], v[195:196], v[95:96]
	v_add_f64_e32 v[97:98], v[131:132], v[97:98]
	;; [unrolled: 1-line block ×4, first 2 shown]
	v_fma_f64 v[131:132], v[20:21], s[36:37], v[135:136]
	v_add_f64_e32 v[99:100], v[201:202], v[99:100]
	v_add_f64_e32 v[85:86], v[145:146], v[85:86]
	v_fma_f64 v[129:130], v[20:21], s[22:23], v[129:130]
	v_fma_f64 v[105:106], v[30:31], s[0:1], -v[151:152]
	v_add_f64_e32 v[89:90], v[197:198], v[89:90]
	v_add_f64_e32 v[83:84], v[143:144], v[83:84]
	v_fma_f64 v[113:114], v[20:21], s[30:31], v[113:114]
	v_fma_f64 v[133:134], v[20:21], s[24:25], v[40:41]
	v_add_f64_e32 v[121:122], v[217:218], v[147:148]
	v_add_f64_e32 v[135:136], v[32:33], v[44:45]
	v_fma_f64 v[139:140], v[20:21], s[34:35], v[40:41]
	v_add_f64_e32 v[103:104], v[12:13], v[8:9]
	v_add_f64_e32 v[141:142], v[14:15], v[10:11]
	;; [unrolled: 1-line block ×14, first 2 shown]
	v_mov_b32_e32 v72, 0
	v_add_f64_e32 v[44:45], v[119:120], v[38:39]
	v_mad_u32_u24 v52, 0xd0, v58, v75
	v_add_f64_e32 v[46:47], v[50:51], v[48:49]
	v_lshl_add_u32 v82, v69, 4, v75
	v_lshl_add_u32 v81, v65, 4, v75
	;; [unrolled: 1-line block ×4, first 2 shown]
	v_add_f64_e32 v[4:5], v[42:43], v[95:96]
	v_mov_b32_e32 v73, 0
	v_add_f64_e32 v[40:41], v[117:118], v[125:126]
	v_cmp_ne_u32_e64 s1, 0, v58
	v_add_f64_e32 v[42:43], v[131:132], v[127:128]
	v_add_f64_e32 v[36:37], v[107:108], v[99:100]
	v_cmp_eq_u32_e64 s0, 0, v58
	v_add_f64_e32 v[38:39], v[129:130], v[85:86]
	v_add_f64_e32 v[32:33], v[105:106], v[89:90]
	;; [unrolled: 1-line block ×5, first 2 shown]
	v_lshl_add_u32 v83, v67, 4, v75
	v_add_f64_e32 v[50:51], v[139:140], v[135:136]
	v_add_f64_e32 v[0:1], v[103:104], v[0:1]
	v_add_f64_e32 v[2:3], v[141:142], v[2:3]
	ds_store_b128 v52, v[8:11] offset:32
	ds_store_b128 v52, v[12:15] offset:48
	;; [unrolled: 1-line block ×12, first 2 shown]
	ds_store_b128 v52, v[0:3]
	global_wb scope:SCOPE_SE
	s_wait_dscnt 0x0
	s_barrier_signal -1
	s_barrier_wait -1
	global_inv scope:SCOPE_SE
	ds_load_b128 v[8:11], v76
	ds_load_b128 v[32:35], v78 offset:208
	ds_load_b128 v[40:43], v78 offset:240
	;; [unrolled: 1-line block ×3, first 2 shown]
	ds_load_b128 v[20:23], v82
	ds_load_b128 v[16:19], v81
	ds_load_b128 v[48:51], v78 offset:304
	ds_load_b128 v[44:47], v78 offset:336
	ds_load_b128 v[24:27], v80
	ds_load_b128 v[12:15], v79
	;; [unrolled: 1-line block ×3, first 2 shown]
	ds_load_b128 v[52:55], v78 offset:368
                                        ; implicit-def: $vgpr2_vgpr3
	s_and_saveexec_b32 s2, s0
	s_cbranch_execz .LBB0_15
; %bb.14:
	ds_load_b128 v[4:7], v75 offset:192
	ds_load_b128 v[0:3], v75 offset:400
	v_mov_b32_e32 v72, 12
	v_mov_b32_e32 v73, 0
.LBB0_15:
	s_wait_alu 0xfffe
	s_or_b32 exec_lo, exec_lo, s2
	v_mov_b32_e32 v59, 0
	s_delay_alu instid0(VALU_DEP_1)
	v_mov_b32_e32 v68, v59
	v_lshlrev_b64_e32 v[73:74], 4, v[58:59]
	v_mov_b32_e32 v70, v59
	v_mov_b32_e32 v66, v59
	;; [unrolled: 1-line block ×3, first 2 shown]
	v_lshlrev_b64_e32 v[67:68], 4, v[67:68]
	s_delay_alu instid0(VALU_DEP_4) | instskip(SKIP_3) | instid1(VALU_DEP_4)
	v_lshlrev_b64_e32 v[84:85], 4, v[69:70]
	v_add_co_u32 v73, s2, s8, v73
	s_wait_alu 0xf1ff
	v_add_co_ci_u32_e64 v74, s2, s9, v74, s2
	v_add_co_u32 v70, s2, s8, v67
	v_lshlrev_b64_e32 v[66:67], 4, v[65:66]
	v_lshlrev_b64_e32 v[64:65], 4, v[63:64]
	v_mov_b32_e32 v63, v59
	s_wait_alu 0xf1ff
	v_add_co_ci_u32_e64 v71, s2, s9, v68, s2
	v_add_co_u32 v68, s2, s8, v84
	s_wait_alu 0xf1ff
	v_add_co_ci_u32_e64 v69, s2, s9, v85, s2
	v_add_co_u32 v66, s2, s8, v66
	v_lshlrev_b64_e32 v[62:63], 4, v[62:63]
	s_wait_alu 0xf1ff
	v_add_co_ci_u32_e64 v67, s2, s9, v67, s2
	v_add_co_u32 v64, s2, s8, v64
	s_clause 0x2
	global_load_b128 v[84:87], v[73:74], off
	global_load_b128 v[88:91], v[70:71], off
	;; [unrolled: 1-line block ×3, first 2 shown]
	s_wait_alu 0xf1ff
	v_add_co_ci_u32_e64 v65, s2, s9, v65, s2
	v_add_co_u32 v62, s2, s8, v62
	s_wait_alu 0xf1ff
	v_add_co_ci_u32_e64 v63, s2, s9, v63, s2
	s_clause 0x2
	global_load_b128 v[96:99], v[66:67], off
	global_load_b128 v[100:103], v[64:65], off
	;; [unrolled: 1-line block ×3, first 2 shown]
	global_wb scope:SCOPE_SE
	s_wait_loadcnt_dscnt 0x0
	s_barrier_signal -1
	s_barrier_wait -1
	global_inv scope:SCOPE_SE
	v_mul_f64_e32 v[108:109], v[34:35], v[86:87]
	v_mul_f64_e32 v[86:87], v[32:33], v[86:87]
	;; [unrolled: 1-line block ×12, first 2 shown]
	v_fma_f64 v[32:33], v[32:33], v[84:85], v[108:109]
	v_fma_f64 v[34:35], v[34:35], v[84:85], -v[86:87]
	v_fma_f64 v[40:41], v[40:41], v[88:89], v[110:111]
	v_fma_f64 v[42:43], v[42:43], v[88:89], -v[90:91]
	;; [unrolled: 2-line block ×6, first 2 shown]
	v_add_f64_e64 v[32:33], v[8:9], -v[32:33]
	v_add_f64_e64 v[34:35], v[10:11], -v[34:35]
	;; [unrolled: 1-line block ×12, first 2 shown]
	v_fma_f64 v[8:9], v[8:9], 2.0, -v[32:33]
	v_fma_f64 v[10:11], v[10:11], 2.0, -v[34:35]
	;; [unrolled: 1-line block ×12, first 2 shown]
	ds_store_b128 v78, v[8:11]
	ds_store_b128 v78, v[32:35] offset:208
	ds_store_b128 v83, v[28:31]
	ds_store_b128 v83, v[36:39] offset:208
	;; [unrolled: 2-line block ×6, first 2 shown]
	s_and_saveexec_b32 s2, s0
	s_cbranch_execz .LBB0_17
; %bb.16:
	v_lshlrev_b32_e32 v8, 4, v72
	global_load_b128 v[8:11], v8, s[8:9]
	s_wait_loadcnt 0x0
	v_mul_f64_e32 v[12:13], v[0:1], v[10:11]
	v_mul_f64_e32 v[10:11], v[2:3], v[10:11]
	s_delay_alu instid0(VALU_DEP_2) | instskip(NEXT) | instid1(VALU_DEP_2)
	v_fma_f64 v[2:3], v[2:3], v[8:9], -v[12:13]
	v_fma_f64 v[0:1], v[0:1], v[8:9], v[10:11]
	s_delay_alu instid0(VALU_DEP_2) | instskip(NEXT) | instid1(VALU_DEP_2)
	v_add_f64_e64 v[2:3], v[6:7], -v[2:3]
	v_add_f64_e64 v[0:1], v[4:5], -v[0:1]
	s_delay_alu instid0(VALU_DEP_2) | instskip(NEXT) | instid1(VALU_DEP_2)
	v_fma_f64 v[6:7], v[6:7], 2.0, -v[2:3]
	v_fma_f64 v[4:5], v[4:5], 2.0, -v[0:1]
	ds_store_b128 v75, v[4:7] offset:192
	ds_store_b128 v75, v[0:3] offset:400
.LBB0_17:
	s_wait_alu 0xfffe
	s_or_b32 exec_lo, exec_lo, s2
	global_wb scope:SCOPE_SE
	s_wait_dscnt 0x0
	s_barrier_signal -1
	s_barrier_wait -1
	global_inv scope:SCOPE_SE
	ds_load_b128 v[8:11], v76
	v_sub_nc_u32_e32 v12, v75, v77
                                        ; implicit-def: $vgpr2_vgpr3
                                        ; implicit-def: $vgpr6_vgpr7
	s_and_saveexec_b32 s2, s1
	s_wait_alu 0xfffe
	s_xor_b32 s1, exec_lo, s2
	s_cbranch_execz .LBB0_19
; %bb.18:
	global_load_b128 v[2:5], v[73:74], off offset:208
	ds_load_b128 v[13:16], v12 offset:416
	s_wait_dscnt 0x0
	v_add_f64_e64 v[0:1], v[8:9], -v[13:14]
	v_add_f64_e32 v[6:7], v[10:11], v[15:16]
	v_add_f64_e64 v[10:11], v[10:11], -v[15:16]
	s_delay_alu instid0(VALU_DEP_3) | instskip(SKIP_1) | instid1(VALU_DEP_4)
	v_mul_f64_e32 v[15:16], 0.5, v[0:1]
	v_add_f64_e32 v[0:1], v[8:9], v[13:14]
	v_mul_f64_e32 v[8:9], 0.5, v[6:7]
	s_delay_alu instid0(VALU_DEP_4) | instskip(SKIP_1) | instid1(VALU_DEP_4)
	v_mul_f64_e32 v[6:7], 0.5, v[10:11]
	s_wait_loadcnt 0x0
	v_mul_f64_e32 v[10:11], v[15:16], v[4:5]
	s_delay_alu instid0(VALU_DEP_2) | instskip(NEXT) | instid1(VALU_DEP_2)
	v_fma_f64 v[13:14], v[8:9], v[4:5], v[6:7]
	v_fma_f64 v[17:18], v[0:1], 0.5, v[10:11]
	v_fma_f64 v[0:1], v[0:1], 0.5, -v[10:11]
	v_fma_f64 v[10:11], v[8:9], v[4:5], -v[6:7]
	s_delay_alu instid0(VALU_DEP_4) | instskip(NEXT) | instid1(VALU_DEP_4)
	v_fma_f64 v[6:7], -v[2:3], v[15:16], v[13:14]
	v_fma_f64 v[4:5], v[8:9], v[2:3], v[17:18]
	s_delay_alu instid0(VALU_DEP_4) | instskip(NEXT) | instid1(VALU_DEP_4)
	v_fma_f64 v[0:1], -v[8:9], v[2:3], v[0:1]
	v_fma_f64 v[2:3], -v[2:3], v[15:16], v[10:11]
                                        ; implicit-def: $vgpr8_vgpr9
.LBB0_19:
	s_wait_alu 0xfffe
	s_and_not1_saveexec_b32 s1, s1
	s_cbranch_execz .LBB0_21
; %bb.20:
	s_wait_dscnt 0x0
	v_add_f64_e32 v[4:5], v[8:9], v[10:11]
	v_add_f64_e64 v[0:1], v[8:9], -v[10:11]
	ds_load_b64 v[8:9], v75 offset:216
	v_mov_b32_e32 v6, 0
	v_mov_b32_e32 v7, 0
	s_delay_alu instid0(VALU_DEP_1)
	v_dual_mov_b32 v2, v6 :: v_dual_mov_b32 v3, v7
	s_wait_dscnt 0x0
	v_xor_b32_e32 v9, 0x80000000, v9
	ds_store_b64 v75, v[8:9] offset:216
.LBB0_21:
	s_wait_alu 0xfffe
	s_or_b32 exec_lo, exec_lo, s1
	s_wait_dscnt 0x0
	s_clause 0x1
	global_load_b128 v[8:11], v[70:71], off offset:208
	global_load_b128 v[13:16], v[68:69], off offset:208
	ds_store_b128 v76, v[4:7]
	ds_store_b128 v12, v[0:3] offset:416
	ds_load_b128 v[0:3], v83
	ds_load_b128 v[4:7], v12 offset:384
	s_wait_dscnt 0x0
	v_add_f64_e64 v[17:18], v[0:1], -v[4:5]
	v_add_f64_e32 v[19:20], v[2:3], v[6:7]
	v_add_f64_e64 v[2:3], v[2:3], -v[6:7]
	v_add_f64_e32 v[0:1], v[0:1], v[4:5]
	s_delay_alu instid0(VALU_DEP_4) | instskip(NEXT) | instid1(VALU_DEP_4)
	v_mul_f64_e32 v[6:7], 0.5, v[17:18]
	v_mul_f64_e32 v[17:18], 0.5, v[19:20]
	s_delay_alu instid0(VALU_DEP_4) | instskip(SKIP_1) | instid1(VALU_DEP_3)
	v_mul_f64_e32 v[2:3], 0.5, v[2:3]
	s_wait_loadcnt 0x1
	v_mul_f64_e32 v[4:5], v[6:7], v[10:11]
	s_delay_alu instid0(VALU_DEP_2) | instskip(SKIP_1) | instid1(VALU_DEP_3)
	v_fma_f64 v[19:20], v[17:18], v[10:11], v[2:3]
	v_fma_f64 v[10:11], v[17:18], v[10:11], -v[2:3]
	v_fma_f64 v[21:22], v[0:1], 0.5, v[4:5]
	v_fma_f64 v[4:5], v[0:1], 0.5, -v[4:5]
	s_delay_alu instid0(VALU_DEP_4) | instskip(NEXT) | instid1(VALU_DEP_4)
	v_fma_f64 v[2:3], -v[8:9], v[6:7], v[19:20]
	v_fma_f64 v[6:7], -v[8:9], v[6:7], v[10:11]
	s_delay_alu instid0(VALU_DEP_4) | instskip(NEXT) | instid1(VALU_DEP_4)
	v_fma_f64 v[0:1], v[17:18], v[8:9], v[21:22]
	v_fma_f64 v[4:5], -v[17:18], v[8:9], v[4:5]
	global_load_b128 v[8:11], v[66:67], off offset:208
	ds_store_b128 v83, v[0:3]
	ds_store_b128 v12, v[4:7] offset:384
	ds_load_b128 v[0:3], v82
	ds_load_b128 v[4:7], v12 offset:352
	s_wait_dscnt 0x0
	v_add_f64_e64 v[17:18], v[0:1], -v[4:5]
	v_add_f64_e32 v[19:20], v[2:3], v[6:7]
	v_add_f64_e64 v[2:3], v[2:3], -v[6:7]
	v_add_f64_e32 v[0:1], v[0:1], v[4:5]
	s_delay_alu instid0(VALU_DEP_4) | instskip(NEXT) | instid1(VALU_DEP_4)
	v_mul_f64_e32 v[6:7], 0.5, v[17:18]
	v_mul_f64_e32 v[17:18], 0.5, v[19:20]
	s_delay_alu instid0(VALU_DEP_4) | instskip(SKIP_1) | instid1(VALU_DEP_3)
	v_mul_f64_e32 v[2:3], 0.5, v[2:3]
	s_wait_loadcnt 0x1
	v_mul_f64_e32 v[4:5], v[6:7], v[15:16]
	s_delay_alu instid0(VALU_DEP_2) | instskip(SKIP_1) | instid1(VALU_DEP_3)
	v_fma_f64 v[19:20], v[17:18], v[15:16], v[2:3]
	v_fma_f64 v[15:16], v[17:18], v[15:16], -v[2:3]
	v_fma_f64 v[21:22], v[0:1], 0.5, v[4:5]
	v_fma_f64 v[4:5], v[0:1], 0.5, -v[4:5]
	s_delay_alu instid0(VALU_DEP_4) | instskip(NEXT) | instid1(VALU_DEP_4)
	v_fma_f64 v[2:3], -v[13:14], v[6:7], v[19:20]
	v_fma_f64 v[6:7], -v[13:14], v[6:7], v[15:16]
	s_delay_alu instid0(VALU_DEP_4) | instskip(NEXT) | instid1(VALU_DEP_4)
	v_fma_f64 v[0:1], v[17:18], v[13:14], v[21:22]
	v_fma_f64 v[4:5], -v[17:18], v[13:14], v[4:5]
	;; [unrolled: 28-line block ×4, first 2 shown]
	ds_store_b128 v80, v[0:3]
	ds_store_b128 v12, v[4:7] offset:288
	ds_load_b128 v[0:3], v79
	ds_load_b128 v[4:7], v12 offset:256
	s_wait_dscnt 0x0
	v_add_f64_e64 v[13:14], v[0:1], -v[4:5]
	v_add_f64_e32 v[15:16], v[2:3], v[6:7]
	v_add_f64_e64 v[2:3], v[2:3], -v[6:7]
	v_add_f64_e32 v[0:1], v[0:1], v[4:5]
	s_delay_alu instid0(VALU_DEP_4) | instskip(NEXT) | instid1(VALU_DEP_4)
	v_mul_f64_e32 v[6:7], 0.5, v[13:14]
	v_mul_f64_e32 v[13:14], 0.5, v[15:16]
	s_delay_alu instid0(VALU_DEP_4) | instskip(SKIP_1) | instid1(VALU_DEP_3)
	v_mul_f64_e32 v[2:3], 0.5, v[2:3]
	s_wait_loadcnt 0x0
	v_mul_f64_e32 v[4:5], v[6:7], v[10:11]
	s_delay_alu instid0(VALU_DEP_2) | instskip(SKIP_1) | instid1(VALU_DEP_3)
	v_fma_f64 v[15:16], v[13:14], v[10:11], v[2:3]
	v_fma_f64 v[10:11], v[13:14], v[10:11], -v[2:3]
	v_fma_f64 v[17:18], v[0:1], 0.5, v[4:5]
	v_fma_f64 v[4:5], v[0:1], 0.5, -v[4:5]
	s_delay_alu instid0(VALU_DEP_4) | instskip(NEXT) | instid1(VALU_DEP_4)
	v_fma_f64 v[2:3], -v[8:9], v[6:7], v[15:16]
	v_fma_f64 v[6:7], -v[8:9], v[6:7], v[10:11]
	s_delay_alu instid0(VALU_DEP_4) | instskip(NEXT) | instid1(VALU_DEP_4)
	v_fma_f64 v[0:1], v[13:14], v[8:9], v[17:18]
	v_fma_f64 v[4:5], -v[13:14], v[8:9], v[4:5]
	ds_store_b128 v79, v[0:3]
	ds_store_b128 v12, v[4:7] offset:256
	s_and_saveexec_b32 s1, s0
	s_cbranch_execz .LBB0_23
; %bb.22:
	ds_load_b128 v[0:3], v75 offset:192
	ds_load_b128 v[4:7], v75 offset:224
	s_load_b128 s[8:11], s[8:9], 0x190
	s_wait_dscnt 0x0
	v_add_f64_e64 v[8:9], v[0:1], -v[4:5]
	v_add_f64_e32 v[10:11], v[2:3], v[6:7]
	v_add_f64_e64 v[2:3], v[2:3], -v[6:7]
	v_add_f64_e32 v[0:1], v[0:1], v[4:5]
	s_delay_alu instid0(VALU_DEP_4) | instskip(NEXT) | instid1(VALU_DEP_4)
	v_mul_f64_e32 v[6:7], 0.5, v[8:9]
	v_mul_f64_e32 v[8:9], 0.5, v[10:11]
	s_delay_alu instid0(VALU_DEP_4) | instskip(SKIP_1) | instid1(VALU_DEP_3)
	v_mul_f64_e32 v[2:3], 0.5, v[2:3]
	s_wait_kmcnt 0x0
	v_mul_f64_e32 v[4:5], s[10:11], v[6:7]
	s_delay_alu instid0(VALU_DEP_2) | instskip(SKIP_1) | instid1(VALU_DEP_3)
	v_fma_f64 v[10:11], v[8:9], s[10:11], v[2:3]
	v_fma_f64 v[12:13], v[8:9], s[10:11], -v[2:3]
	v_fma_f64 v[14:15], v[0:1], 0.5, v[4:5]
	v_fma_f64 v[4:5], v[0:1], 0.5, -v[4:5]
	s_delay_alu instid0(VALU_DEP_4) | instskip(NEXT) | instid1(VALU_DEP_4)
	v_fma_f64 v[2:3], -s[8:9], v[6:7], v[10:11]
	v_fma_f64 v[6:7], -s[8:9], v[6:7], v[12:13]
	s_delay_alu instid0(VALU_DEP_4) | instskip(NEXT) | instid1(VALU_DEP_4)
	v_fma_f64 v[0:1], v[8:9], s[8:9], v[14:15]
	v_fma_f64 v[4:5], -v[8:9], s[8:9], v[4:5]
	ds_store_b128 v75, v[0:3] offset:192
	ds_store_b128 v75, v[4:7] offset:224
.LBB0_23:
	s_wait_alu 0xfffe
	s_or_b32 exec_lo, exec_lo, s1
	global_wb scope:SCOPE_SE
	s_wait_dscnt 0x0
	s_barrier_signal -1
	s_barrier_wait -1
	global_inv scope:SCOPE_SE
	s_and_saveexec_b32 s0, vcc_lo
	s_cbranch_execz .LBB0_26
; %bb.24:
	v_mul_lo_u32 v3, s5, v60
	v_mul_lo_u32 v4, s4, v61
	v_mad_co_u64_u32 v[0:1], null, s4, v60, 0
	v_mov_b32_e32 v59, 0
	v_lshlrev_b64_e32 v[11:12], 4, v[56:57]
	v_lshl_add_u32 v2, v58, 4, v75
	v_add_nc_u32_e32 v13, 2, v58
	s_delay_alu instid0(VALU_DEP_4)
	v_dual_mov_b32 v16, v59 :: v_dual_add_nc_u32 v15, 4, v58
	v_add3_u32 v1, v1, v4, v3
	v_lshlrev_b64_e32 v[17:18], 4, v[58:59]
	v_mov_b32_e32 v14, v59
	ds_load_b128 v[3:6], v2
	ds_load_b128 v[7:10], v2 offset:32
	v_lshlrev_b64_e32 v[21:22], 4, v[15:16]
	v_lshlrev_b64_e32 v[0:1], 4, v[0:1]
	v_dual_mov_b32 v26, v59 :: v_dual_add_nc_u32 v25, 6, v58
	v_lshlrev_b64_e32 v[19:20], 4, v[13:14]
	v_dual_mov_b32 v28, v59 :: v_dual_add_nc_u32 v27, 8, v58
	s_delay_alu instid0(VALU_DEP_4) | instskip(SKIP_3) | instid1(VALU_DEP_3)
	v_add_co_u32 v0, vcc_lo, s6, v0
	s_wait_alu 0xfffd
	v_add_co_ci_u32_e32 v1, vcc_lo, s7, v1, vcc_lo
	v_lshlrev_b64_e32 v[25:26], 4, v[25:26]
	v_add_co_u32 v0, vcc_lo, v0, v11
	s_wait_alu 0xfffd
	s_delay_alu instid0(VALU_DEP_3) | instskip(SKIP_1) | instid1(VALU_DEP_3)
	v_add_co_ci_u32_e32 v1, vcc_lo, v1, v12, vcc_lo
	v_add_nc_u32_e32 v29, 18, v58
	v_add_co_u32 v23, vcc_lo, v0, v17
	s_wait_alu 0xfffd
	s_delay_alu instid0(VALU_DEP_3)
	v_add_co_ci_u32_e32 v24, vcc_lo, v1, v18, vcc_lo
	ds_load_b128 v[11:14], v2 offset:64
	ds_load_b128 v[15:18], v2 offset:96
	v_add_co_u32 v19, vcc_lo, v0, v19
	s_wait_alu 0xfffd
	v_add_co_ci_u32_e32 v20, vcc_lo, v1, v20, vcc_lo
	v_add_co_u32 v21, vcc_lo, v0, v21
	s_wait_alu 0xfffd
	v_add_co_ci_u32_e32 v22, vcc_lo, v1, v22, vcc_lo
	;; [unrolled: 3-line block ×3, first 2 shown]
	v_add_nc_u32_e32 v31, 24, v58
	s_wait_dscnt 0x3
	global_store_b128 v[23:24], v[3:6], off
	s_wait_dscnt 0x2
	global_store_b128 v[19:20], v[7:10], off
	;; [unrolled: 2-line block ×4, first 2 shown]
	v_lshlrev_b64_e32 v[3:4], 4, v[27:28]
	v_dual_mov_b32 v12, v59 :: v_dual_add_nc_u32 v11, 10, v58
	v_dual_mov_b32 v14, v59 :: v_dual_add_nc_u32 v13, 12, v58
	v_dual_mov_b32 v26, v59 :: v_dual_add_nc_u32 v25, 14, v58
	s_delay_alu instid0(VALU_DEP_4)
	v_add_co_u32 v19, vcc_lo, v0, v3
	s_wait_alu 0xfffd
	v_add_co_ci_u32_e32 v20, vcc_lo, v1, v4, vcc_lo
	ds_load_b128 v[3:6], v2 offset:128
	ds_load_b128 v[7:10], v2 offset:160
	v_lshlrev_b64_e32 v[21:22], 4, v[11:12]
	v_lshlrev_b64_e32 v[23:24], 4, v[13:14]
	ds_load_b128 v[11:14], v2 offset:192
	ds_load_b128 v[15:18], v2 offset:224
	v_lshlrev_b64_e32 v[25:26], 4, v[25:26]
	v_dual_mov_b32 v30, v59 :: v_dual_add_nc_u32 v27, 16, v58
	v_add_co_u32 v21, vcc_lo, v0, v21
	s_wait_alu 0xfffd
	v_add_co_ci_u32_e32 v22, vcc_lo, v1, v22, vcc_lo
	v_add_co_u32 v23, vcc_lo, v0, v23
	s_wait_alu 0xfffd
	v_add_co_ci_u32_e32 v24, vcc_lo, v1, v24, vcc_lo
	v_add_co_u32 v25, vcc_lo, v0, v25
	v_lshlrev_b64_e32 v[27:28], 4, v[27:28]
	s_wait_alu 0xfffd
	v_add_co_ci_u32_e32 v26, vcc_lo, v1, v26, vcc_lo
	s_wait_dscnt 0x3
	global_store_b128 v[19:20], v[3:6], off
	s_wait_dscnt 0x2
	global_store_b128 v[21:22], v[7:10], off
	;; [unrolled: 2-line block ×4, first 2 shown]
	v_mov_b32_e32 v12, v59
	v_lshlrev_b64_e32 v[3:4], 4, v[29:30]
	v_add_co_u32 v23, vcc_lo, v0, v27
	v_dual_mov_b32 v20, v59 :: v_dual_add_nc_u32 v11, 20, v58
	s_wait_alu 0xfffd
	v_add_co_ci_u32_e32 v24, vcc_lo, v1, v28, vcc_lo
	s_delay_alu instid0(VALU_DEP_4)
	v_add_co_u32 v25, vcc_lo, v0, v3
	v_dual_mov_b32 v32, v59 :: v_dual_add_nc_u32 v19, 22, v58
	s_wait_alu 0xfffd
	v_add_co_ci_u32_e32 v26, vcc_lo, v1, v4, vcc_lo
	ds_load_b128 v[3:6], v2 offset:256
	ds_load_b128 v[7:10], v2 offset:288
	v_lshlrev_b64_e32 v[27:28], 4, v[11:12]
	ds_load_b128 v[11:14], v2 offset:320
	ds_load_b128 v[15:18], v2 offset:352
	v_lshlrev_b64_e32 v[29:30], 4, v[19:20]
	ds_load_b128 v[19:22], v2 offset:384
	v_lshlrev_b64_e32 v[31:32], 4, v[31:32]
	v_add_co_u32 v27, vcc_lo, v0, v27
	s_wait_alu 0xfffd
	v_add_co_ci_u32_e32 v28, vcc_lo, v1, v28, vcc_lo
	v_add_co_u32 v29, vcc_lo, v0, v29
	s_wait_alu 0xfffd
	v_add_co_ci_u32_e32 v30, vcc_lo, v1, v30, vcc_lo
	;; [unrolled: 3-line block ×3, first 2 shown]
	v_cmp_eq_u32_e32 vcc_lo, 1, v58
	s_wait_dscnt 0x4
	global_store_b128 v[23:24], v[3:6], off
	s_wait_dscnt 0x3
	global_store_b128 v[25:26], v[7:10], off
	;; [unrolled: 2-line block ×5, first 2 shown]
	s_and_b32 exec_lo, exec_lo, vcc_lo
	s_cbranch_execz .LBB0_26
; %bb.25:
	ds_load_b128 v[2:5], v2 offset:400
	s_wait_dscnt 0x0
	global_store_b128 v[0:1], v[2:5], off offset:416
.LBB0_26:
	s_nop 0
	s_sendmsg sendmsg(MSG_DEALLOC_VGPRS)
	s_endpgm
	.section	.rodata,"a",@progbits
	.p2align	6, 0x0
	.amdhsa_kernel fft_rtc_back_len26_factors_13_2_wgs_64_tpt_2_halfLds_dp_op_CI_CI_unitstride_sbrr_R2C_dirReg
		.amdhsa_group_segment_fixed_size 0
		.amdhsa_private_segment_fixed_size 0
		.amdhsa_kernarg_size 104
		.amdhsa_user_sgpr_count 2
		.amdhsa_user_sgpr_dispatch_ptr 0
		.amdhsa_user_sgpr_queue_ptr 0
		.amdhsa_user_sgpr_kernarg_segment_ptr 1
		.amdhsa_user_sgpr_dispatch_id 0
		.amdhsa_user_sgpr_private_segment_size 0
		.amdhsa_wavefront_size32 1
		.amdhsa_uses_dynamic_stack 0
		.amdhsa_enable_private_segment 0
		.amdhsa_system_sgpr_workgroup_id_x 1
		.amdhsa_system_sgpr_workgroup_id_y 0
		.amdhsa_system_sgpr_workgroup_id_z 0
		.amdhsa_system_sgpr_workgroup_info 0
		.amdhsa_system_vgpr_workitem_id 0
		.amdhsa_next_free_vgpr 249
		.amdhsa_next_free_sgpr 44
		.amdhsa_reserve_vcc 1
		.amdhsa_float_round_mode_32 0
		.amdhsa_float_round_mode_16_64 0
		.amdhsa_float_denorm_mode_32 3
		.amdhsa_float_denorm_mode_16_64 3
		.amdhsa_fp16_overflow 0
		.amdhsa_workgroup_processor_mode 1
		.amdhsa_memory_ordered 1
		.amdhsa_forward_progress 0
		.amdhsa_round_robin_scheduling 0
		.amdhsa_exception_fp_ieee_invalid_op 0
		.amdhsa_exception_fp_denorm_src 0
		.amdhsa_exception_fp_ieee_div_zero 0
		.amdhsa_exception_fp_ieee_overflow 0
		.amdhsa_exception_fp_ieee_underflow 0
		.amdhsa_exception_fp_ieee_inexact 0
		.amdhsa_exception_int_div_zero 0
	.end_amdhsa_kernel
	.text
.Lfunc_end0:
	.size	fft_rtc_back_len26_factors_13_2_wgs_64_tpt_2_halfLds_dp_op_CI_CI_unitstride_sbrr_R2C_dirReg, .Lfunc_end0-fft_rtc_back_len26_factors_13_2_wgs_64_tpt_2_halfLds_dp_op_CI_CI_unitstride_sbrr_R2C_dirReg
                                        ; -- End function
	.section	.AMDGPU.csdata,"",@progbits
; Kernel info:
; codeLenInByte = 8036
; NumSgprs: 46
; NumVgprs: 249
; ScratchSize: 0
; MemoryBound: 0
; FloatMode: 240
; IeeeMode: 1
; LDSByteSize: 0 bytes/workgroup (compile time only)
; SGPRBlocks: 5
; VGPRBlocks: 31
; NumSGPRsForWavesPerEU: 46
; NumVGPRsForWavesPerEU: 249
; Occupancy: 5
; WaveLimiterHint : 1
; COMPUTE_PGM_RSRC2:SCRATCH_EN: 0
; COMPUTE_PGM_RSRC2:USER_SGPR: 2
; COMPUTE_PGM_RSRC2:TRAP_HANDLER: 0
; COMPUTE_PGM_RSRC2:TGID_X_EN: 1
; COMPUTE_PGM_RSRC2:TGID_Y_EN: 0
; COMPUTE_PGM_RSRC2:TGID_Z_EN: 0
; COMPUTE_PGM_RSRC2:TIDIG_COMP_CNT: 0
	.text
	.p2alignl 7, 3214868480
	.fill 96, 4, 3214868480
	.type	__hip_cuid_76618c2740d117f0,@object ; @__hip_cuid_76618c2740d117f0
	.section	.bss,"aw",@nobits
	.globl	__hip_cuid_76618c2740d117f0
__hip_cuid_76618c2740d117f0:
	.byte	0                               ; 0x0
	.size	__hip_cuid_76618c2740d117f0, 1

	.ident	"AMD clang version 19.0.0git (https://github.com/RadeonOpenCompute/llvm-project roc-6.4.0 25133 c7fe45cf4b819c5991fe208aaa96edf142730f1d)"
	.section	".note.GNU-stack","",@progbits
	.addrsig
	.addrsig_sym __hip_cuid_76618c2740d117f0
	.amdgpu_metadata
---
amdhsa.kernels:
  - .args:
      - .actual_access:  read_only
        .address_space:  global
        .offset:         0
        .size:           8
        .value_kind:     global_buffer
      - .offset:         8
        .size:           8
        .value_kind:     by_value
      - .actual_access:  read_only
        .address_space:  global
        .offset:         16
        .size:           8
        .value_kind:     global_buffer
      - .actual_access:  read_only
        .address_space:  global
        .offset:         24
        .size:           8
        .value_kind:     global_buffer
      - .actual_access:  read_only
        .address_space:  global
        .offset:         32
        .size:           8
        .value_kind:     global_buffer
      - .offset:         40
        .size:           8
        .value_kind:     by_value
      - .actual_access:  read_only
        .address_space:  global
        .offset:         48
        .size:           8
        .value_kind:     global_buffer
      - .actual_access:  read_only
        .address_space:  global
        .offset:         56
        .size:           8
        .value_kind:     global_buffer
      - .offset:         64
        .size:           4
        .value_kind:     by_value
      - .actual_access:  read_only
        .address_space:  global
        .offset:         72
        .size:           8
        .value_kind:     global_buffer
      - .actual_access:  read_only
        .address_space:  global
        .offset:         80
        .size:           8
        .value_kind:     global_buffer
      - .actual_access:  read_only
        .address_space:  global
        .offset:         88
        .size:           8
        .value_kind:     global_buffer
      - .actual_access:  write_only
        .address_space:  global
        .offset:         96
        .size:           8
        .value_kind:     global_buffer
    .group_segment_fixed_size: 0
    .kernarg_segment_align: 8
    .kernarg_segment_size: 104
    .language:       OpenCL C
    .language_version:
      - 2
      - 0
    .max_flat_workgroup_size: 64
    .name:           fft_rtc_back_len26_factors_13_2_wgs_64_tpt_2_halfLds_dp_op_CI_CI_unitstride_sbrr_R2C_dirReg
    .private_segment_fixed_size: 0
    .sgpr_count:     46
    .sgpr_spill_count: 0
    .symbol:         fft_rtc_back_len26_factors_13_2_wgs_64_tpt_2_halfLds_dp_op_CI_CI_unitstride_sbrr_R2C_dirReg.kd
    .uniform_work_group_size: 1
    .uses_dynamic_stack: false
    .vgpr_count:     249
    .vgpr_spill_count: 0
    .wavefront_size: 32
    .workgroup_processor_mode: 1
amdhsa.target:   amdgcn-amd-amdhsa--gfx1201
amdhsa.version:
  - 1
  - 2
...

	.end_amdgpu_metadata
